;; amdgpu-corpus repo=llvm/llvm-project kind=harvested arch=n/a opt=n/a
// NOTE: Assertions have been autogenerated by utils/update_mc_test_checks.py UTC_ARGS: --unique --sort --version 6
// RUN: not llvm-mc -triple=amdgcn -mcpu=gfx1200 %s -filetype=null 2>&1 | FileCheck --check-prefixes=NOGFX12 --implicit-check-not=error: %s

tbuffer_load_format_d16_x v3, v0, null, s1 offen offset:4095
// NOGFX12: :[[@LINE-1]]:35: error: invalid operand for instruction

tbuffer_load_format_d16_xy v[3:4], v0, null, s1 offen offset:4095
// NOGFX12: :[[@LINE-1]]:28: error: invalid operand for instruction

tbuffer_load_format_d16_xyz v[3:5], v0, null, s1 offen offset:4095
// NOGFX12: :[[@LINE-1]]:29: error: invalid operand for instruction

tbuffer_load_format_d16_xyzw v[3:6], v0, null, s1 offen offset:4095
// NOGFX12: :[[@LINE-1]]:30: error: invalid operand for instruction

tbuffer_load_format_x v3, v0, null, s1 offen offset:4095
// NOGFX12: :[[@LINE-1]]:31: error: invalid operand for instruction

tbuffer_load_format_xy v[3:4], v0, null, s1 offen offset:4095
// NOGFX12: :[[@LINE-1]]:36: error: invalid operand for instruction

tbuffer_load_format_xyz v[3:5], v0, null, s1 offen offset:4095
// NOGFX12: :[[@LINE-1]]:37: error: invalid operand for instruction

tbuffer_load_format_xyzw v[3:6], v0, null, s1 offen offset:4095
// NOGFX12: :[[@LINE-1]]:38: error: invalid operand for instruction

tbuffer_store_format_d16_x v3, v0, null, s1 offen offset:4095
// NOGFX12: :[[@LINE-1]]:36: error: invalid operand for instruction

tbuffer_store_format_d16_xy v[3:4], v0, null, s1 offen offset:4095
// NOGFX12: :[[@LINE-1]]:29: error: invalid operand for instruction

tbuffer_store_format_d16_xyz v[3:5], v0, null, s1 offen offset:4095
// NOGFX12: :[[@LINE-1]]:30: error: invalid operand for instruction

tbuffer_store_format_d16_xyzw v[3:6], v0, null, s1 offen offset:4095
// NOGFX12: :[[@LINE-1]]:31: error: invalid operand for instruction

tbuffer_store_format_x v3, v0, null, s1 offen offset:4095
// NOGFX12: :[[@LINE-1]]:32: error: invalid operand for instruction

tbuffer_store_format_xy v[3:4], v0, null, s1 offen offset:4095
// NOGFX12: :[[@LINE-1]]:37: error: invalid operand for instruction

tbuffer_store_format_xyz v[3:5], v0, null, s1 offen offset:4095
// NOGFX12: :[[@LINE-1]]:38: error: invalid operand for instruction

tbuffer_store_format_xyzw v[3:6], v0, null, s1 offen offset:4095
// NOGFX12: :[[@LINE-1]]:39: error: invalid operand for instruction
